;; amdgpu-corpus repo=ROCm/rocFFT kind=compiled arch=gfx906 opt=O3
	.text
	.amdgcn_target "amdgcn-amd-amdhsa--gfx906"
	.amdhsa_code_object_version 6
	.protected	fft_rtc_back_len2048_factors_16_16_8_wgs_256_tpt_256_halfLds_half_op_CI_CI_unitstride_sbrr_C2R_dirReg ; -- Begin function fft_rtc_back_len2048_factors_16_16_8_wgs_256_tpt_256_halfLds_half_op_CI_CI_unitstride_sbrr_C2R_dirReg
	.globl	fft_rtc_back_len2048_factors_16_16_8_wgs_256_tpt_256_halfLds_half_op_CI_CI_unitstride_sbrr_C2R_dirReg
	.p2align	8
	.type	fft_rtc_back_len2048_factors_16_16_8_wgs_256_tpt_256_halfLds_half_op_CI_CI_unitstride_sbrr_C2R_dirReg,@function
fft_rtc_back_len2048_factors_16_16_8_wgs_256_tpt_256_halfLds_half_op_CI_CI_unitstride_sbrr_C2R_dirReg: ; @fft_rtc_back_len2048_factors_16_16_8_wgs_256_tpt_256_halfLds_half_op_CI_CI_unitstride_sbrr_C2R_dirReg
; %bb.0:
	s_load_dwordx4 s[12:15], s[4:5], 0x0
	s_load_dwordx4 s[8:11], s[4:5], 0x58
	;; [unrolled: 1-line block ×3, first 2 shown]
	v_mov_b32_e32 v8, 0
	v_mov_b32_e32 v6, 0
	s_waitcnt lgkmcnt(0)
	v_cmp_lt_u64_e64 s[0:1], s[14:15], 2
	v_mov_b32_e32 v10, s6
	v_mov_b32_e32 v11, v8
	s_and_b64 vcc, exec, s[0:1]
	v_mov_b32_e32 v7, 0
	s_cbranch_vccnz .LBB0_8
; %bb.1:
	s_load_dwordx2 s[0:1], s[4:5], 0x10
	s_add_u32 s2, s18, 8
	s_addc_u32 s3, s19, 0
	s_add_u32 s6, s16, 8
	s_addc_u32 s7, s17, 0
	v_mov_b32_e32 v6, 0
	s_waitcnt lgkmcnt(0)
	s_add_u32 s20, s0, 8
	v_mov_b32_e32 v7, 0
	v_mov_b32_e32 v1, v6
	s_addc_u32 s21, s1, 0
	s_mov_b64 s[22:23], 1
	v_mov_b32_e32 v2, v7
.LBB0_2:                                ; =>This Inner Loop Header: Depth=1
	s_load_dwordx2 s[24:25], s[20:21], 0x0
                                        ; implicit-def: $vgpr3_vgpr4
	s_waitcnt lgkmcnt(0)
	v_or_b32_e32 v9, s25, v11
	v_cmp_ne_u64_e32 vcc, 0, v[8:9]
	s_and_saveexec_b64 s[0:1], vcc
	s_xor_b64 s[26:27], exec, s[0:1]
	s_cbranch_execz .LBB0_4
; %bb.3:                                ;   in Loop: Header=BB0_2 Depth=1
	v_cvt_f32_u32_e32 v3, s24
	v_cvt_f32_u32_e32 v4, s25
	s_sub_u32 s0, 0, s24
	s_subb_u32 s1, 0, s25
	v_mac_f32_e32 v3, 0x4f800000, v4
	v_rcp_f32_e32 v3, v3
	v_mul_f32_e32 v3, 0x5f7ffffc, v3
	v_mul_f32_e32 v4, 0x2f800000, v3
	v_trunc_f32_e32 v4, v4
	v_mac_f32_e32 v3, 0xcf800000, v4
	v_cvt_u32_f32_e32 v4, v4
	v_cvt_u32_f32_e32 v3, v3
	v_mul_lo_u32 v5, s0, v4
	v_mul_hi_u32 v9, s0, v3
	v_mul_lo_u32 v13, s1, v3
	v_mul_lo_u32 v12, s0, v3
	v_add_u32_e32 v5, v9, v5
	v_add_u32_e32 v5, v5, v13
	v_mul_hi_u32 v9, v3, v12
	v_mul_lo_u32 v13, v3, v5
	v_mul_hi_u32 v15, v3, v5
	v_mul_hi_u32 v14, v4, v12
	v_mul_lo_u32 v12, v4, v12
	v_mul_hi_u32 v16, v4, v5
	v_add_co_u32_e32 v9, vcc, v9, v13
	v_addc_co_u32_e32 v13, vcc, 0, v15, vcc
	v_mul_lo_u32 v5, v4, v5
	v_add_co_u32_e32 v9, vcc, v9, v12
	v_addc_co_u32_e32 v9, vcc, v13, v14, vcc
	v_addc_co_u32_e32 v12, vcc, 0, v16, vcc
	v_add_co_u32_e32 v5, vcc, v9, v5
	v_addc_co_u32_e32 v9, vcc, 0, v12, vcc
	v_add_co_u32_e32 v3, vcc, v3, v5
	v_addc_co_u32_e32 v4, vcc, v4, v9, vcc
	v_mul_lo_u32 v5, s0, v4
	v_mul_hi_u32 v9, s0, v3
	v_mul_lo_u32 v12, s1, v3
	v_mul_lo_u32 v13, s0, v3
	v_add_u32_e32 v5, v9, v5
	v_add_u32_e32 v5, v5, v12
	v_mul_lo_u32 v14, v3, v5
	v_mul_hi_u32 v15, v3, v13
	v_mul_hi_u32 v16, v3, v5
	;; [unrolled: 1-line block ×3, first 2 shown]
	v_mul_lo_u32 v13, v4, v13
	v_mul_hi_u32 v9, v4, v5
	v_add_co_u32_e32 v14, vcc, v15, v14
	v_addc_co_u32_e32 v15, vcc, 0, v16, vcc
	v_mul_lo_u32 v5, v4, v5
	v_add_co_u32_e32 v13, vcc, v14, v13
	v_addc_co_u32_e32 v12, vcc, v15, v12, vcc
	v_addc_co_u32_e32 v9, vcc, 0, v9, vcc
	v_add_co_u32_e32 v5, vcc, v12, v5
	v_addc_co_u32_e32 v9, vcc, 0, v9, vcc
	v_add_co_u32_e32 v5, vcc, v3, v5
	v_addc_co_u32_e32 v9, vcc, v4, v9, vcc
	v_mad_u64_u32 v[3:4], s[0:1], v10, v9, 0
	v_mul_hi_u32 v12, v10, v5
	v_add_co_u32_e32 v14, vcc, v12, v3
	v_addc_co_u32_e32 v15, vcc, 0, v4, vcc
	v_mad_u64_u32 v[3:4], s[0:1], v11, v5, 0
	v_mad_u64_u32 v[12:13], s[0:1], v11, v9, 0
	v_add_co_u32_e32 v3, vcc, v14, v3
	v_addc_co_u32_e32 v3, vcc, v15, v4, vcc
	v_addc_co_u32_e32 v4, vcc, 0, v13, vcc
	v_add_co_u32_e32 v5, vcc, v3, v12
	v_addc_co_u32_e32 v9, vcc, 0, v4, vcc
	v_mul_lo_u32 v12, s25, v5
	v_mul_lo_u32 v13, s24, v9
	v_mad_u64_u32 v[3:4], s[0:1], s24, v5, 0
	v_add3_u32 v4, v4, v13, v12
	v_sub_u32_e32 v12, v11, v4
	v_mov_b32_e32 v13, s25
	v_sub_co_u32_e32 v3, vcc, v10, v3
	v_subb_co_u32_e64 v12, s[0:1], v12, v13, vcc
	v_subrev_co_u32_e64 v13, s[0:1], s24, v3
	v_subbrev_co_u32_e64 v12, s[0:1], 0, v12, s[0:1]
	v_cmp_le_u32_e64 s[0:1], s25, v12
	v_cndmask_b32_e64 v14, 0, -1, s[0:1]
	v_cmp_le_u32_e64 s[0:1], s24, v13
	v_cndmask_b32_e64 v13, 0, -1, s[0:1]
	v_cmp_eq_u32_e64 s[0:1], s25, v12
	v_cndmask_b32_e64 v12, v14, v13, s[0:1]
	v_add_co_u32_e64 v13, s[0:1], 2, v5
	v_addc_co_u32_e64 v14, s[0:1], 0, v9, s[0:1]
	v_add_co_u32_e64 v15, s[0:1], 1, v5
	v_addc_co_u32_e64 v16, s[0:1], 0, v9, s[0:1]
	v_subb_co_u32_e32 v4, vcc, v11, v4, vcc
	v_cmp_ne_u32_e64 s[0:1], 0, v12
	v_cmp_le_u32_e32 vcc, s25, v4
	v_cndmask_b32_e64 v12, v16, v14, s[0:1]
	v_cndmask_b32_e64 v14, 0, -1, vcc
	v_cmp_le_u32_e32 vcc, s24, v3
	v_cndmask_b32_e64 v3, 0, -1, vcc
	v_cmp_eq_u32_e32 vcc, s25, v4
	v_cndmask_b32_e32 v3, v14, v3, vcc
	v_cmp_ne_u32_e32 vcc, 0, v3
	v_cndmask_b32_e64 v3, v15, v13, s[0:1]
	v_cndmask_b32_e32 v4, v9, v12, vcc
	v_cndmask_b32_e32 v3, v5, v3, vcc
.LBB0_4:                                ;   in Loop: Header=BB0_2 Depth=1
	s_andn2_saveexec_b64 s[0:1], s[26:27]
	s_cbranch_execz .LBB0_6
; %bb.5:                                ;   in Loop: Header=BB0_2 Depth=1
	v_cvt_f32_u32_e32 v3, s24
	s_sub_i32 s26, 0, s24
	v_rcp_iflag_f32_e32 v3, v3
	v_mul_f32_e32 v3, 0x4f7ffffe, v3
	v_cvt_u32_f32_e32 v3, v3
	v_mul_lo_u32 v4, s26, v3
	v_mul_hi_u32 v4, v3, v4
	v_add_u32_e32 v3, v3, v4
	v_mul_hi_u32 v3, v10, v3
	v_mul_lo_u32 v4, v3, s24
	v_add_u32_e32 v5, 1, v3
	v_sub_u32_e32 v4, v10, v4
	v_subrev_u32_e32 v9, s24, v4
	v_cmp_le_u32_e32 vcc, s24, v4
	v_cndmask_b32_e32 v4, v4, v9, vcc
	v_cndmask_b32_e32 v3, v3, v5, vcc
	v_add_u32_e32 v5, 1, v3
	v_cmp_le_u32_e32 vcc, s24, v4
	v_cndmask_b32_e32 v3, v3, v5, vcc
	v_mov_b32_e32 v4, v8
.LBB0_6:                                ;   in Loop: Header=BB0_2 Depth=1
	s_or_b64 exec, exec, s[0:1]
	v_mul_lo_u32 v5, v4, s24
	v_mul_lo_u32 v9, v3, s25
	v_mad_u64_u32 v[12:13], s[0:1], v3, s24, 0
	s_load_dwordx2 s[0:1], s[6:7], 0x0
	s_load_dwordx2 s[24:25], s[2:3], 0x0
	v_add3_u32 v5, v13, v9, v5
	v_sub_co_u32_e32 v9, vcc, v10, v12
	v_subb_co_u32_e32 v5, vcc, v11, v5, vcc
	s_waitcnt lgkmcnt(0)
	v_mul_lo_u32 v10, s0, v5
	v_mul_lo_u32 v11, s1, v9
	v_mad_u64_u32 v[6:7], s[0:1], s0, v9, v[6:7]
	s_add_u32 s22, s22, 1
	s_addc_u32 s23, s23, 0
	s_add_u32 s2, s2, 8
	v_mul_lo_u32 v5, s24, v5
	v_mul_lo_u32 v12, s25, v9
	v_mad_u64_u32 v[1:2], s[0:1], s24, v9, v[1:2]
	v_add3_u32 v7, v11, v7, v10
	s_addc_u32 s3, s3, 0
	v_mov_b32_e32 v9, s14
	s_add_u32 s6, s6, 8
	v_mov_b32_e32 v10, s15
	s_addc_u32 s7, s7, 0
	v_cmp_ge_u64_e32 vcc, s[22:23], v[9:10]
	s_add_u32 s20, s20, 8
	v_add3_u32 v2, v12, v2, v5
	s_addc_u32 s21, s21, 0
	s_cbranch_vccnz .LBB0_9
; %bb.7:                                ;   in Loop: Header=BB0_2 Depth=1
	v_mov_b32_e32 v11, v4
	v_mov_b32_e32 v10, v3
	s_branch .LBB0_2
.LBB0_8:
	v_mov_b32_e32 v1, v6
	v_mov_b32_e32 v3, v10
	;; [unrolled: 1-line block ×4, first 2 shown]
.LBB0_9:
	s_load_dwordx2 s[0:1], s[4:5], 0x28
	s_lshl_b64 s[6:7], s[14:15], 3
	s_add_u32 s2, s18, s6
	s_addc_u32 s3, s19, s7
                                        ; implicit-def: $vgpr5
	s_waitcnt lgkmcnt(0)
	v_cmp_gt_u64_e32 vcc, s[0:1], v[3:4]
	v_cmp_le_u64_e64 s[0:1], s[0:1], v[3:4]
	s_and_saveexec_b64 s[4:5], s[0:1]
	s_xor_b64 s[0:1], exec, s[4:5]
; %bb.10:
	v_mov_b32_e32 v5, v0
                                        ; implicit-def: $vgpr6_vgpr7
; %bb.11:
	s_or_saveexec_b64 s[4:5], s[0:1]
	s_load_dwordx2 s[2:3], s[2:3], 0x0
	v_lshlrev_b32_e32 v20, 2, v0
	s_xor_b64 exec, exec, s[4:5]
	s_cbranch_execz .LBB0_15
; %bb.12:
	s_add_u32 s0, s16, s6
	s_addc_u32 s1, s17, s7
	s_load_dwordx2 s[0:1], s[0:1], 0x0
	v_lshlrev_b64 v[5:6], 2, v[6:7]
	v_mov_b32_e32 v12, s9
	v_or_b32_e32 v17, 0xc00, v20
	v_or_b32_e32 v13, 0x1800, v20
	s_waitcnt lgkmcnt(0)
	v_mul_lo_u32 v10, s1, v3
	v_mul_lo_u32 v11, s0, v4
	v_mad_u64_u32 v[8:9], s[0:1], s0, v3, 0
	v_add3_u32 v9, v9, v11, v10
	v_lshlrev_b64 v[7:8], 2, v[8:9]
	v_or_b32_e32 v9, 0x1000, v20
	v_add_co_u32_e64 v7, s[0:1], s8, v7
	v_addc_co_u32_e64 v8, s[0:1], v12, v8, s[0:1]
	v_add_co_u32_e64 v15, s[0:1], v7, v5
	v_addc_co_u32_e64 v16, s[0:1], v8, v6, s[0:1]
	;; [unrolled: 2-line block ×5, first 2 shown]
	v_or_b32_e32 v11, 0x1400, v20
	v_add_co_u32_e64 v11, s[0:1], v15, v11
	v_addc_co_u32_e64 v12, s[0:1], 0, v16, s[0:1]
	v_add_co_u32_e64 v13, s[0:1], v15, v13
	v_addc_co_u32_e64 v14, s[0:1], 0, v16, s[0:1]
	global_load_dword v18, v[5:6], off
	global_load_dword v19, v[5:6], off offset:1024
	global_load_dword v21, v[5:6], off offset:2048
	global_load_dword v22, v[7:8], off
	global_load_dword v23, v[9:10], off
	;; [unrolled: 1-line block ×4, first 2 shown]
	v_or_b32_e32 v5, 0x1c00, v20
	v_add_co_u32_e64 v6, s[0:1], v15, v5
	v_addc_co_u32_e64 v7, s[0:1], 0, v16, s[0:1]
	global_load_dword v9, v[6:7], off
	s_movk_i32 s0, 0xff
	v_add_u32_e32 v10, 0, v20
	v_add_u32_e32 v8, 0, v5
	v_cmp_eq_u32_e64 s[0:1], s0, v0
	v_mov_b32_e32 v5, v0
	v_add_u32_e32 v11, 0, v17
	s_waitcnt vmcnt(6)
	ds_write2st64_b32 v10, v18, v19 offset1:4
	s_waitcnt vmcnt(4)
	ds_write_b32 v11, v22
	s_waitcnt vmcnt(3)
	ds_write2st64_b32 v10, v21, v23 offset0:8 offset1:16
	s_waitcnt vmcnt(1)
	ds_write2st64_b32 v10, v24, v25 offset0:20 offset1:24
	s_waitcnt vmcnt(0)
	ds_write_b32 v8, v9
	s_and_saveexec_b64 s[6:7], s[0:1]
	s_cbranch_execz .LBB0_14
; %bb.13:
	global_load_dword v5, v[6:7], off offset:4
	s_waitcnt vmcnt(0)
	ds_write_b32 v8, v5 offset:4
	v_mov_b32_e32 v5, 0xff
.LBB0_14:
	s_or_b64 exec, exec, s[6:7]
.LBB0_15:
	s_or_b64 exec, exec, s[4:5]
	v_lshlrev_b32_e32 v6, 2, v5
	v_add_u32_e32 v18, 0, v6
	s_waitcnt lgkmcnt(0)
	s_barrier
	v_sub_u32_e32 v8, 0, v6
	ds_read_u16 v6, v18
	ds_read_u16 v7, v8 offset:8192
	s_add_u32 s4, s12, 0x1fc0
	s_addc_u32 s5, s13, 0
	v_cmp_ne_u32_e64 s[0:1], 0, v5
	s_waitcnt lgkmcnt(0)
	v_add_f16_e32 v10, v7, v6
	v_sub_f16_e32 v9, v6, v7
                                        ; implicit-def: $vgpr6_vgpr7
	s_and_saveexec_b64 s[6:7], s[0:1]
	s_xor_b64 s[6:7], exec, s[6:7]
	s_cbranch_execz .LBB0_17
; %bb.16:
	v_mov_b32_e32 v6, 0
	v_lshlrev_b64 v[11:12], 2, v[5:6]
	v_mov_b32_e32 v7, s5
	v_add_co_u32_e64 v11, s[0:1], s4, v11
	v_addc_co_u32_e64 v12, s[0:1], v7, v12, s[0:1]
	global_load_dword v7, v[11:12], off
	ds_read_u16 v11, v8 offset:8194
	ds_read_u16 v12, v18 offset:2
	s_waitcnt lgkmcnt(0)
	v_add_f16_e32 v13, v11, v12
	v_sub_f16_e32 v11, v12, v11
	s_waitcnt vmcnt(0)
	v_lshrrev_b32_e32 v12, 16, v7
	v_fma_f16 v14, v9, v12, v10
	v_fma_f16 v15, v13, v12, v11
	v_fma_f16 v10, -v9, v12, v10
	v_fma_f16 v11, v13, v12, -v11
	v_fma_f16 v12, -v7, v13, v14
	v_fma_f16 v14, v9, v7, v15
	v_fma_f16 v10, v7, v13, v10
	;; [unrolled: 1-line block ×3, first 2 shown]
	v_pack_b32_f16 v9, v12, v14
	v_pack_b32_f16 v7, v10, v7
	ds_write_b32 v18, v9
	ds_write_b32 v8, v7 offset:8192
	v_mov_b32_e32 v7, v6
	v_mov_b32_e32 v6, v5
                                        ; implicit-def: $vgpr10
                                        ; implicit-def: $vgpr9
.LBB0_17:
	s_andn2_saveexec_b64 s[0:1], s[6:7]
	s_cbranch_execz .LBB0_19
; %bb.18:
	v_pack_b32_f16 v6, v10, v9
	ds_write_b32 v18, v6
	v_mov_b32_e32 v9, 0
	ds_read_b32 v6, v9 offset:4096
	s_mov_b32 s6, 0xc0004000
	s_waitcnt lgkmcnt(0)
	v_pk_mul_f16 v10, v6, s6
	v_mov_b32_e32 v6, 0
	v_mov_b32_e32 v7, 0
	ds_write_b32 v9, v10 offset:4096
.LBB0_19:
	s_or_b64 exec, exec, s[0:1]
	v_lshlrev_b64 v[6:7], 2, v[6:7]
	v_mov_b32_e32 v9, s5
	v_add_co_u32_e64 v6, s[0:1], s4, v6
	v_addc_co_u32_e64 v7, s[0:1], v9, v7, s[0:1]
	global_load_dword v9, v[6:7], off offset:1024
	global_load_dword v10, v[6:7], off offset:2048
	v_mov_b32_e32 v6, 0xc00
	v_lshl_or_b32 v6, v0, 2, v6
	global_load_dword v7, v6, s[4:5]
	ds_read_b32 v11, v18 offset:1024
	ds_read_b32 v12, v8 offset:7168
	v_add_u32_e32 v19, 0, v6
	s_mov_b32 s0, 0xb9a8
	s_movk_i32 s1, 0x39a8
	s_mov_b32 s4, 0xbb64
	s_waitcnt lgkmcnt(0)
	v_add_f16_e32 v13, v11, v12
	v_add_f16_sdwa v14, v12, v11 dst_sel:DWORD dst_unused:UNUSED_PAD src0_sel:WORD_1 src1_sel:WORD_1
	v_sub_f16_e32 v15, v11, v12
	v_sub_f16_sdwa v11, v11, v12 dst_sel:DWORD dst_unused:UNUSED_PAD src0_sel:WORD_1 src1_sel:WORD_1
	s_movk_i32 s5, 0x361f
	s_mov_b32 s6, 0xb61f
	s_movk_i32 s7, 0x3b64
	s_waitcnt vmcnt(2)
	v_lshrrev_b32_e32 v12, 16, v9
	v_fma_f16 v16, v15, v12, v13
	v_fma_f16 v17, v14, v12, v11
	v_fma_f16 v13, -v15, v12, v13
	v_fma_f16 v11, v14, v12, -v11
	v_fma_f16 v12, -v9, v14, v16
	v_fma_f16 v16, v15, v9, v17
	v_fma_f16 v13, v9, v14, v13
	v_fma_f16 v9, v15, v9, v11
	v_pack_b32_f16 v11, v12, v16
	v_pack_b32_f16 v9, v13, v9
	ds_write_b32 v18, v11 offset:1024
	ds_write_b32 v8, v9 offset:7168
	ds_read_b32 v9, v18 offset:2048
	ds_read_b32 v11, v8 offset:6144
	s_waitcnt vmcnt(1)
	v_lshrrev_b32_e32 v6, 16, v10
	s_waitcnt lgkmcnt(0)
	v_add_f16_e32 v12, v9, v11
	v_add_f16_sdwa v13, v11, v9 dst_sel:DWORD dst_unused:UNUSED_PAD src0_sel:WORD_1 src1_sel:WORD_1
	v_sub_f16_e32 v14, v9, v11
	v_sub_f16_sdwa v9, v9, v11 dst_sel:DWORD dst_unused:UNUSED_PAD src0_sel:WORD_1 src1_sel:WORD_1
	v_fma_f16 v11, v14, v6, v12
	v_fma_f16 v15, v13, v6, v9
	v_fma_f16 v12, -v14, v6, v12
	v_fma_f16 v6, v13, v6, -v9
	v_fma_f16 v9, -v10, v13, v11
	v_fma_f16 v11, v14, v10, v15
	v_fma_f16 v12, v10, v13, v12
	;; [unrolled: 1-line block ×3, first 2 shown]
	v_pack_b32_f16 v9, v9, v11
	v_pack_b32_f16 v6, v12, v6
	ds_write_b32 v18, v9 offset:2048
	ds_write_b32 v8, v6 offset:6144
	ds_read_b32 v6, v19
	ds_read_b32 v9, v8 offset:5120
	s_waitcnt vmcnt(0)
	v_lshrrev_b32_e32 v10, 16, v7
	s_waitcnt lgkmcnt(0)
	v_add_f16_e32 v11, v6, v9
	v_add_f16_sdwa v12, v9, v6 dst_sel:DWORD dst_unused:UNUSED_PAD src0_sel:WORD_1 src1_sel:WORD_1
	v_sub_f16_e32 v13, v6, v9
	v_sub_f16_sdwa v6, v6, v9 dst_sel:DWORD dst_unused:UNUSED_PAD src0_sel:WORD_1 src1_sel:WORD_1
	v_fma_f16 v9, v13, v10, v11
	v_fma_f16 v14, v12, v10, v6
	v_fma_f16 v11, -v13, v10, v11
	v_fma_f16 v6, v12, v10, -v6
	v_fma_f16 v9, -v7, v12, v9
	v_fma_f16 v10, v13, v7, v14
	v_fma_f16 v11, v7, v12, v11
	;; [unrolled: 1-line block ×3, first 2 shown]
	v_pack_b32_f16 v7, v9, v10
	v_pack_b32_f16 v6, v11, v6
	ds_write_b32 v19, v7
	ds_write_b32 v8, v6 offset:5120
	s_waitcnt lgkmcnt(0)
	s_barrier
	s_barrier
	ds_read2st64_b32 v[6:7], v18 offset1:2
	ds_read2st64_b32 v[8:9], v18 offset0:4 offset1:6
	ds_read2st64_b32 v[10:11], v18 offset0:16 offset1:18
	;; [unrolled: 1-line block ×7, first 2 shown]
	s_waitcnt lgkmcnt(5)
	v_pk_add_f16 v10, v6, v10 neg_lo:[0,1] neg_hi:[0,1]
	s_waitcnt lgkmcnt(3)
	v_pk_add_f16 v14, v12, v14 neg_lo:[0,1] neg_hi:[0,1]
	v_add_f16_sdwa v25, v10, v14 dst_sel:DWORD dst_unused:UNUSED_PAD src0_sel:DWORD src1_sel:WORD_1
	s_waitcnt lgkmcnt(1)
	v_pk_add_f16 v21, v8, v21 neg_lo:[0,1] neg_hi:[0,1]
	s_waitcnt lgkmcnt(0)
	v_pk_add_f16 v23, v16, v23 neg_lo:[0,1] neg_hi:[0,1]
	v_lshrrev_b32_e32 v26, 16, v10
	v_add_f16_sdwa v27, v21, v23 dst_sel:DWORD dst_unused:UNUSED_PAD src0_sel:DWORD src1_sel:WORD_1
	v_lshrrev_b32_e32 v28, 16, v21
	v_pk_fma_f16 v6, v6, 2.0, v10 op_sel_hi:[1,0,1] neg_lo:[0,0,1] neg_hi:[0,0,1]
	v_pk_fma_f16 v12, v12, 2.0, v14 op_sel_hi:[1,0,1] neg_lo:[0,0,1] neg_hi:[0,0,1]
	;; [unrolled: 1-line block ×4, first 2 shown]
	v_sub_f16_e32 v14, v26, v14
	v_fma_f16 v10, v10, 2.0, -v25
	v_sub_f16_e32 v23, v28, v23
	v_fma_f16 v21, v21, 2.0, -v27
	v_fma_f16 v29, v27, s1, v25
	v_fma_f16 v26, v26, 2.0, -v14
	v_fma_f16 v28, v28, 2.0, -v23
	v_fma_f16 v30, v21, s0, v10
	v_pk_add_f16 v11, v7, v11 neg_lo:[0,1] neg_hi:[0,1]
	v_pk_add_f16 v15, v13, v15 neg_lo:[0,1] neg_hi:[0,1]
	;; [unrolled: 1-line block ×4, first 2 shown]
	v_fma_f16 v35, v23, s1, v29
	v_fma_f16 v23, v23, s1, v14
	;; [unrolled: 1-line block ×6, first 2 shown]
	v_add_f16_sdwa v21, v11, v15 dst_sel:DWORD dst_unused:UNUSED_PAD src0_sel:DWORD src1_sel:WORD_1
	v_lshrrev_b32_e32 v23, 16, v11
	v_add_f16_sdwa v27, v22, v24 dst_sel:DWORD dst_unused:UNUSED_PAD src0_sel:DWORD src1_sel:WORD_1
	v_lshrrev_b32_e32 v28, 16, v22
	v_pk_fma_f16 v7, v7, 2.0, v11 op_sel_hi:[1,0,1] neg_lo:[0,0,1] neg_hi:[0,0,1]
	v_pk_fma_f16 v13, v13, 2.0, v15 op_sel_hi:[1,0,1] neg_lo:[0,0,1] neg_hi:[0,0,1]
	;; [unrolled: 1-line block ×4, first 2 shown]
	v_sub_f16_e32 v15, v23, v15
	v_fma_f16 v11, v11, 2.0, -v21
	v_sub_f16_e32 v24, v28, v24
	v_fma_f16 v22, v22, 2.0, -v27
	v_fma_f16 v23, v23, 2.0, -v15
	;; [unrolled: 1-line block ×3, first 2 shown]
	v_fma_f16 v29, v22, s0, v11
	v_pk_add_f16 v12, v6, v12 neg_lo:[0,1] neg_hi:[0,1]
	v_pk_add_f16 v16, v8, v16 neg_lo:[0,1] neg_hi:[0,1]
	;; [unrolled: 1-line block ×4, first 2 shown]
	v_fma_f16 v34, v28, s1, v29
	v_fma_f16 v28, v28, s0, v23
	v_pk_fma_f16 v6, v6, 2.0, v12 op_sel_hi:[1,0,1] neg_lo:[0,0,1] neg_hi:[0,0,1]
	v_pk_fma_f16 v8, v8, 2.0, v16 op_sel_hi:[1,0,1] neg_lo:[0,0,1] neg_hi:[0,0,1]
	;; [unrolled: 1-line block ×4, first 2 shown]
	v_fma_f16 v37, v22, s0, v28
	v_fma_f16 v22, v27, s1, v21
	v_pk_add_f16 v39, v6, v8 neg_lo:[0,1] neg_hi:[0,1]
	v_pk_add_f16 v40, v7, v9 neg_lo:[0,1] neg_hi:[0,1]
	v_fma_f16 v29, v24, s1, v22
	v_fma_f16 v22, v24, s1, v15
	v_pk_fma_f16 v6, v6, 2.0, v39 op_sel_hi:[1,0,1] neg_lo:[0,0,1] neg_hi:[0,0,1]
	v_fma_f16 v8, v10, 2.0, -v33
	v_pk_fma_f16 v7, v7, 2.0, v40 op_sel_hi:[1,0,1] neg_lo:[0,0,1] neg_hi:[0,0,1]
	v_fma_f16 v9, v11, 2.0, -v34
	v_fma_f16 v27, v27, s0, v22
	v_fma_f16 v22, v23, 2.0, -v37
	v_pk_add_f16 v10, v6, v7 neg_lo:[0,1] neg_hi:[0,1]
	v_fma_f16 v7, v9, s4, v8
	v_fma_f16 v23, v26, 2.0, -v36
	v_fma_f16 v11, v22, s5, v7
	v_fma_f16 v7, v22, s4, v23
	v_add_f16_sdwa v41, v12, v16 dst_sel:DWORD dst_unused:UNUSED_PAD src0_sel:DWORD src1_sel:WORD_1
	v_fma_f16 v22, v9, s6, v7
	v_fma_f16 v7, v8, 2.0, -v11
	v_lshrrev_b32_e32 v8, 16, v12
	v_fma_f16 v9, v12, 2.0, -v41
	v_lshrrev_b32_e32 v12, 16, v13
	v_sub_f16_e32 v42, v8, v16
	v_fma_f16 v16, v25, 2.0, -v35
	v_add_f16_sdwa v25, v13, v17 dst_sel:DWORD dst_unused:UNUSED_PAD src0_sel:DWORD src1_sel:WORD_1
	v_sub_f16_e32 v17, v12, v17
	v_fma_f16 v8, v8, 2.0, -v42
	v_fma_f16 v12, v12, 2.0, -v17
	;; [unrolled: 1-line block ×4, first 2 shown]
	v_fma_f16 v21, v12, s0, v8
	v_fma_f16 v15, v15, 2.0, -v27
	v_fma_f16 v21, v13, s0, v21
	v_fma_f16 v13, v13, s0, v9
	v_fma_f16 v32, v14, 2.0, -v38
	v_fma_f16 v12, v12, s1, v13
	v_fma_f16 v14, v15, s6, v32
	;; [unrolled: 1-line block ×3, first 2 shown]
	v_fma_f16 v14, v9, 2.0, -v12
	v_fma_f16 v9, v25, s1, v41
	v_fma_f16 v13, v24, s6, v16
	;; [unrolled: 1-line block ×6, first 2 shown]
	v_fma_f16 v31, v8, 2.0, -v21
	v_fma_f16 v8, v37, s5, v36
	v_fma_f16 v28, v27, s5, v9
	;; [unrolled: 1-line block ×3, first 2 shown]
	v_fma_f16 v30, v23, 2.0, -v22
	v_fma_f16 v23, v34, s4, v8
	v_fma_f16 v8, v34, s5, v33
	;; [unrolled: 1-line block ×4, first 2 shown]
	v_fma_f16 v17, v33, 2.0, -v9
	v_lshrrev_b32_e32 v33, 16, v39
	v_fma_f16 v13, v15, s7, v13
	v_add_f16_sdwa v8, v39, v40 dst_sel:DWORD dst_unused:UNUSED_PAD src0_sel:DWORD src1_sel:WORD_1
	v_sub_f16_e32 v27, v33, v40
	s_movk_i32 s0, 0x80
	v_pk_fma_f16 v6, v6, 2.0, v10 op_sel_hi:[1,0,1] neg_lo:[0,0,1] neg_hi:[0,0,1]
	v_fma_f16 v15, v16, 2.0, -v13
	v_fma_f16 v32, v32, 2.0, -v26
	;; [unrolled: 1-line block ×9, first 2 shown]
	v_cmp_gt_u32_e64 s[0:1], s0, v5
	s_barrier
	s_and_saveexec_b64 s[4:5], s[0:1]
	s_cbranch_execz .LBB0_21
; %bb.20:
	s_mov_b32 s6, 0x5040100
	v_mad_u32_u24 v39, v5, 60, v18
	v_perm_b32 v40, v30, v7, s6
	ds_write2_b32 v39, v6, v40 offset1:1
	v_perm_b32 v40, v32, v15, s6
	v_perm_b32 v41, v31, v14, s6
	ds_write2_b32 v39, v41, v40 offset0:2 offset1:3
	v_perm_b32 v40, v36, v17, s6
	v_perm_b32 v41, v34, v16, s6
	ds_write2_b32 v39, v41, v40 offset0:4 offset1:5
	;; [unrolled: 3-line block ×3, first 2 shown]
	v_perm_b32 v40, v22, v11, s6
	ds_write2_b32 v39, v10, v40 offset0:8 offset1:9
	v_perm_b32 v40, v26, v13, s6
	v_perm_b32 v41, v21, v12, s6
	ds_write2_b32 v39, v41, v40 offset0:10 offset1:11
	v_perm_b32 v40, v23, v9, s6
	;; [unrolled: 3-line block ×3, first 2 shown]
	v_perm_b32 v41, v25, v24, s6
	ds_write2_b32 v39, v41, v40 offset0:14 offset1:15
.LBB0_21:
	s_or_b64 exec, exec, s[4:5]
	s_waitcnt lgkmcnt(0)
	s_barrier
	s_and_saveexec_b64 s[4:5], s[0:1]
	s_cbranch_execz .LBB0_23
; %bb.22:
	v_or_b32_e32 v8, 0xe00, v20
	v_add_u32_e32 v24, 0, v20
	v_or_b32_e32 v20, 0x1e00, v20
	ds_read2st64_b32 v[6:7], v18 offset1:2
	ds_read2st64_b32 v[14:15], v18 offset0:4 offset1:6
	ds_read2st64_b32 v[10:11], v18 offset0:16 offset1:18
	;; [unrolled: 1-line block ×4, first 2 shown]
	v_add_u32_e32 v23, 0, v8
	ds_read2st64_b32 v[8:9], v18 offset0:24 offset1:26
	v_add_u32_e32 v20, 0, v20
	ds_read_b32 v33, v19
	ds_read_b32 v35, v23
	ds_read_b32 v24, v24 offset:7168
	ds_read_b32 v28, v20
	s_waitcnt lgkmcnt(7)
	v_lshrrev_b32_e32 v22, 16, v11
	s_waitcnt lgkmcnt(6)
	v_lshrrev_b32_e32 v21, 16, v12
	v_lshrrev_b32_e32 v26, 16, v13
	s_waitcnt lgkmcnt(4)
	v_lshrrev_b32_e32 v27, 16, v8
	;; [unrolled: 3-line block ×3, first 2 shown]
	s_waitcnt lgkmcnt(0)
	v_lshrrev_b32_e32 v29, 16, v28
	v_lshrrev_b32_e32 v30, 16, v7
	;; [unrolled: 1-line block ×8, first 2 shown]
.LBB0_23:
	s_or_b64 exec, exec, s[4:5]
	s_barrier
	s_and_saveexec_b64 s[4:5], s[0:1]
	s_cbranch_execz .LBB0_25
; %bb.24:
	v_and_b32_e32 v20, 15, v0
	v_mul_u32_u24_e32 v39, 15, v20
	v_lshlrev_b32_e32 v47, 2, v39
	global_load_dwordx4 v[39:42], v47, s[12:13] offset:16
	global_load_dwordx4 v[43:46], v47, s[12:13]
	v_lshrrev_b32_e32 v48, 16, v10
	v_lshrrev_b32_e32 v54, 16, v6
	s_movk_i32 s1, 0x39a8
	s_mov_b32 s0, 0xb9a8
	s_mov_b32 s6, 0xb61f
	s_movk_i32 s8, 0x3b64
	s_mov_b32 s7, 0xbb64
	s_movk_i32 s9, 0x361f
	s_waitcnt vmcnt(1)
	v_mul_f16_sdwa v50, v38, v41 dst_sel:DWORD dst_unused:UNUSED_PAD src0_sel:DWORD src1_sel:WORD_1
	v_fma_f16 v50, v35, v41, v50
	v_mul_f16_sdwa v35, v35, v41 dst_sel:DWORD dst_unused:UNUSED_PAD src0_sel:DWORD src1_sel:WORD_1
	v_fma_f16 v35, v38, v41, -v35
	v_mul_f16_sdwa v38, v37, v40 dst_sel:DWORD dst_unused:UNUSED_PAD src0_sel:DWORD src1_sel:WORD_1
	v_fma_f16 v38, v33, v40, v38
	v_mul_f16_sdwa v33, v33, v40 dst_sel:DWORD dst_unused:UNUSED_PAD src0_sel:DWORD src1_sel:WORD_1
	v_mul_f16_sdwa v49, v36, v39 dst_sel:DWORD dst_unused:UNUSED_PAD src0_sel:DWORD src1_sel:WORD_1
	v_fma_f16 v33, v37, v40, -v33
	v_mul_f16_sdwa v37, v17, v39 dst_sel:DWORD dst_unused:UNUSED_PAD src0_sel:DWORD src1_sel:WORD_1
	v_fma_f16 v36, v36, v39, -v37
	v_mul_f16_sdwa v37, v10, v42 dst_sel:DWORD dst_unused:UNUSED_PAD src0_sel:DWORD src1_sel:WORD_1
	v_mul_f16_sdwa v40, v48, v42 dst_sel:DWORD dst_unused:UNUSED_PAD src0_sel:DWORD src1_sel:WORD_1
	v_fma_f16 v39, v17, v39, v49
	s_waitcnt vmcnt(0)
	v_mul_f16_sdwa v17, v15, v45 dst_sel:DWORD dst_unused:UNUSED_PAD src0_sel:DWORD src1_sel:WORD_1
	v_fma_f16 v37, v48, v42, -v37
	v_fma_f16 v10, v10, v42, v40
	v_mul_f16_sdwa v40, v32, v45 dst_sel:DWORD dst_unused:UNUSED_PAD src0_sel:DWORD src1_sel:WORD_1
	v_mul_f16_sdwa v41, v16, v46 dst_sel:DWORD dst_unused:UNUSED_PAD src0_sel:DWORD src1_sel:WORD_1
	v_fma_f16 v48, v32, v45, -v17
	v_mul_f16_sdwa v17, v31, v44 dst_sel:DWORD dst_unused:UNUSED_PAD src0_sel:DWORD src1_sel:WORD_1
	v_mul_f16_sdwa v32, v34, v46 dst_sel:DWORD dst_unused:UNUSED_PAD src0_sel:DWORD src1_sel:WORD_1
	;; [unrolled: 1-line block ×3, first 2 shown]
	v_fma_f16 v41, v34, v46, -v41
	v_fma_f16 v34, v15, v45, v40
	v_fma_f16 v40, v14, v44, v17
	;; [unrolled: 1-line block ×3, first 2 shown]
	global_load_dwordx4 v[14:17], v47, s[12:13] offset:32
	v_fma_f16 v42, v31, v44, -v42
	v_mul_f16_sdwa v31, v7, v43 dst_sel:DWORD dst_unused:UNUSED_PAD src0_sel:DWORD src1_sel:WORD_1
	v_fma_f16 v44, v30, v43, -v31
	v_mul_f16_sdwa v30, v30, v43 dst_sel:DWORD dst_unused:UNUSED_PAD src0_sel:DWORD src1_sel:WORD_1
	v_fma_f16 v7, v7, v43, v30
	global_load_dwordx3 v[30:32], v47, s[12:13] offset:48
	v_sub_f16_e32 v10, v6, v10
	v_sub_f16_e32 v37, v54, v37
	v_fma_f16 v6, v6, 2.0, -v10
	s_waitcnt vmcnt(1)
	v_mul_f16_sdwa v46, v22, v14 dst_sel:DWORD dst_unused:UNUSED_PAD src0_sel:DWORD src1_sel:WORD_1
	v_mul_f16_sdwa v43, v11, v14 dst_sel:DWORD dst_unused:UNUSED_PAD src0_sel:DWORD src1_sel:WORD_1
	v_fma_f16 v11, v11, v14, v46
	v_mul_f16_sdwa v46, v26, v16 dst_sel:DWORD dst_unused:UNUSED_PAD src0_sel:DWORD src1_sel:WORD_1
	v_mul_f16_sdwa v47, v21, v15 dst_sel:DWORD dst_unused:UNUSED_PAD src0_sel:DWORD src1_sel:WORD_1
	v_fma_f16 v46, v13, v16, v46
	v_fma_f16 v47, v12, v15, v47
	v_mul_f16_sdwa v13, v13, v16 dst_sel:DWORD dst_unused:UNUSED_PAD src0_sel:DWORD src1_sel:WORD_1
	v_mul_f16_sdwa v12, v12, v15 dst_sel:DWORD dst_unused:UNUSED_PAD src0_sel:DWORD src1_sel:WORD_1
	v_fma_f16 v13, v26, v16, -v13
	s_waitcnt vmcnt(0)
	v_mul_f16_sdwa v16, v29, v32 dst_sel:DWORD dst_unused:UNUSED_PAD src0_sel:DWORD src1_sel:WORD_1
	v_fma_f16 v12, v21, v15, -v12
	v_mul_f16_sdwa v15, v25, v31 dst_sel:DWORD dst_unused:UNUSED_PAD src0_sel:DWORD src1_sel:WORD_1
	v_fma_f16 v14, v22, v14, -v43
	v_mul_f16_sdwa v22, v23, v30 dst_sel:DWORD dst_unused:UNUSED_PAD src0_sel:DWORD src1_sel:WORD_1
	v_fma_f16 v16, v28, v32, v16
	v_mul_f16_sdwa v26, v28, v32 dst_sel:DWORD dst_unused:UNUSED_PAD src0_sel:DWORD src1_sel:WORD_1
	v_mul_f16_sdwa v28, v8, v17 dst_sel:DWORD dst_unused:UNUSED_PAD src0_sel:DWORD src1_sel:WORD_1
	v_fma_f16 v15, v24, v31, v15
	v_mul_f16_sdwa v21, v24, v31 dst_sel:DWORD dst_unused:UNUSED_PAD src0_sel:DWORD src1_sel:WORD_1
	v_mul_f16_sdwa v24, v9, v30 dst_sel:DWORD dst_unused:UNUSED_PAD src0_sel:DWORD src1_sel:WORD_1
	v_fma_f16 v26, v29, v32, -v26
	v_fma_f16 v21, v25, v31, -v21
	;; [unrolled: 1-line block ×3, first 2 shown]
	v_mul_f16_sdwa v27, v27, v17 dst_sel:DWORD dst_unused:UNUSED_PAD src0_sel:DWORD src1_sel:WORD_1
	v_fma_f16 v9, v9, v30, v22
	v_fma_f16 v22, v23, v30, -v24
	v_fma_f16 v8, v8, v17, v27
	v_sub_f16_e32 v14, v44, v14
	v_sub_f16_e32 v9, v39, v9
	;; [unrolled: 1-line block ×15, first 2 shown]
	v_add_f16_e32 v28, v17, v23
	v_add_f16_e32 v29, v10, v24
	;; [unrolled: 1-line block ×4, first 2 shown]
	v_sub_f16_e32 v8, v45, v8
	v_sub_f16_e32 v30, v12, v15
	v_fma_f16 v31, v27, s1, v26
	v_fma_f16 v43, v32, s1, v29
	;; [unrolled: 1-line block ×3, first 2 shown]
	v_sub_f16_e32 v55, v37, v8
	v_fma_f16 v31, v28, s0, v31
	v_fma_f16 v43, v30, s1, v43
	;; [unrolled: 1-line block ×4, first 2 shown]
	v_fma_f16 v49, v26, 2.0, -v31
	v_fma_f16 v51, v29, 2.0, -v43
	;; [unrolled: 1-line block ×3, first 2 shown]
	v_fma_f16 v56, v32, s0, v56
	v_fma_f16 v26, v14, 2.0, -v26
	v_fma_f16 v27, v13, 2.0, -v27
	v_fma_f16 v53, v52, s6, v51
	v_fma_f16 v57, v55, 2.0, -v56
	v_fma_f16 v10, v10, 2.0, -v29
	;; [unrolled: 1-line block ×3, first 2 shown]
	v_fma_f16 v29, v27, s0, v26
	v_fma_f16 v46, v11, 2.0, -v46
	v_fma_f16 v53, v49, s8, v53
	v_fma_f16 v49, v49, s6, v57
	v_fma_f16 v29, v28, s0, v29
	v_fma_f16 v28, v28, s0, v46
	v_fma_f16 v49, v52, s7, v49
	v_fma_f16 v27, v27, s1, v28
	v_fma_f16 v28, v12, 2.0, -v30
	v_fma_f16 v30, v25, 2.0, -v32
	;; [unrolled: 1-line block ×13, first 2 shown]
	v_sub_f16_e32 v22, v14, v22
	v_sub_f16_e32 v16, v17, v16
	v_fma_f16 v21, v33, 2.0, -v21
	v_fma_f16 v7, v7, 2.0, -v11
	;; [unrolled: 1-line block ×5, first 2 shown]
	v_sub_f16_e32 v24, v37, v24
	v_sub_f16_e32 v15, v25, v15
	;; [unrolled: 1-line block ×8, first 2 shown]
	v_add_f16_e32 v11, v8, v21
	v_add_f16_e32 v35, v9, v23
	v_fma_f16 v39, v33, s1, v38
	v_fma_f16 v32, v30, s0, v10
	;; [unrolled: 1-line block ×4, first 2 shown]
	v_fma_f16 v40, v8, 2.0, -v11
	v_fma_f16 v35, v9, 2.0, -v35
	v_fma_f16 v32, v28, s1, v32
	v_fma_f16 v28, v28, s0, v52
	;; [unrolled: 1-line block ×3, first 2 shown]
	v_fma_f16 v33, v22, 2.0, -v33
	v_fma_f16 v41, v35, s0, v40
	v_fma_f16 v42, v24, 2.0, -v38
	v_fma_f16 v28, v30, s0, v28
	v_fma_f16 v41, v33, s1, v41
	;; [unrolled: 1-line block ×5, first 2 shown]
	v_fma_f16 v13, v13, 2.0, -v23
	v_fma_f16 v23, v37, 2.0, -v24
	;; [unrolled: 1-line block ×5, first 2 shown]
	v_fma_f16 v34, v27, s9, v32
	v_fma_f16 v35, v27, s7, v35
	v_fma_f16 v6, v6, 2.0, -v8
	v_fma_f16 v15, v25, 2.0, -v15
	;; [unrolled: 1-line block ×3, first 2 shown]
	v_sub_f16_e32 v12, v23, v12
	v_sub_f16_e32 v9, v7, v9
	v_fma_f16 v10, v10, 2.0, -v32
	v_fma_f16 v27, v46, 2.0, -v27
	v_fma_f16 v34, v29, s8, v34
	v_fma_f16 v25, v28, 2.0, -v35
	v_sub_f16_e32 v15, v6, v15
	v_sub_f16_e32 v13, v14, v13
	;; [unrolled: 1-line block ×3, first 2 shown]
	v_fma_f16 v26, v26, 2.0, -v29
	v_fma_f16 v29, v27, s7, v10
	v_fma_f16 v28, v52, 2.0, -v28
	v_fma_f16 v37, v12, 2.0, -v16
	v_fma_f16 v29, v26, s9, v29
	v_fma_f16 v26, v26, s7, v28
	v_fma_f16 v6, v6, 2.0, -v15
	v_fma_f16 v7, v7, 2.0, -v9
	;; [unrolled: 1-line block ×4, first 2 shown]
	v_fma_f16 v30, v47, s8, v43
	v_fma_f16 v26, v27, s6, v26
	v_sub_f16_e32 v7, v6, v7
	v_sub_f16_e32 v12, v9, v12
	v_lshlrev_b32_e32 v14, 4, v0
	s_movk_i32 s0, 0x700
	v_fma_f16 v30, v31, s9, v30
	v_fma_f16 v31, v31, s8, v56
	v_fma_f16 v10, v10, 2.0, -v29
	v_fma_f16 v27, v28, 2.0, -v26
	;; [unrolled: 1-line block ×4, first 2 shown]
	v_and_or_b32 v14, v14, s0, v20
	v_fma_f16 v31, v47, s6, v31
	v_fma_f16 v45, v51, 2.0, -v53
	v_fma_f16 v47, v57, 2.0, -v49
	v_add_f16_e32 v22, v15, v13
	v_fma_f16 v17, v40, 2.0, -v41
	v_fma_f16 v21, v42, 2.0, -v33
	v_lshl_add_u32 v14, v14, 2, 0
	v_pack_b32_f16 v6, v6, v9
	v_pack_b32_f16 v9, v10, v27
	v_fma_f16 v8, v32, 2.0, -v34
	v_fma_f16 v24, v15, 2.0, -v22
	ds_write2_b32 v14, v6, v9 offset1:16
	v_pack_b32_f16 v6, v17, v21
	v_pack_b32_f16 v9, v45, v47
	v_fma_f16 v43, v43, 2.0, -v30
	v_fma_f16 v44, v56, 2.0, -v31
	;; [unrolled: 1-line block ×4, first 2 shown]
	ds_write2_b32 v14, v6, v9 offset0:32 offset1:48
	v_pack_b32_f16 v6, v24, v37
	v_pack_b32_f16 v8, v8, v25
	ds_write2_b32 v14, v6, v8 offset0:64 offset1:80
	v_pack_b32_f16 v6, v11, v13
	v_pack_b32_f16 v8, v43, v44
	;; [unrolled: 3-line block ×6, first 2 shown]
	ds_write2_b32 v14, v6, v7 offset0:224 offset1:240
.LBB0_25:
	s_or_b64 exec, exec, s[4:5]
	v_mul_u32_u24_e32 v6, 7, v5
	v_lshlrev_b32_e32 v13, 2, v6
	s_waitcnt lgkmcnt(0)
	s_barrier
	global_load_dwordx4 v[6:9], v13, s[12:13] offset:960
	global_load_dwordx3 v[10:12], v13, s[12:13] offset:976
	ds_read2st64_b32 v[13:14], v18 offset1:4
	ds_read2st64_b32 v[15:16], v18 offset0:8 offset1:12
	ds_read2st64_b32 v[20:21], v18 offset0:24 offset1:28
	;; [unrolled: 1-line block ×3, first 2 shown]
	ds_read_u16 v17, v18 offset:6146
	s_waitcnt lgkmcnt(4)
	v_lshrrev_b32_e32 v25, 16, v14
	s_waitcnt lgkmcnt(3)
	v_lshrrev_b32_e32 v26, 16, v15
	;; [unrolled: 2-line block ×3, first 2 shown]
	v_lshrrev_b32_e32 v27, 16, v16
	s_waitcnt lgkmcnt(1)
	v_lshrrev_b32_e32 v28, 16, v22
	v_lshrrev_b32_e32 v29, 16, v23
	;; [unrolled: 1-line block ×3, first 2 shown]
	s_mov_b32 s0, 0xb9a8
	s_movk_i32 s1, 0x39a8
	s_waitcnt vmcnt(0) lgkmcnt(0)
	s_barrier
	v_lshl_add_u32 v0, v0, 2, 0
	v_mul_f16_sdwa v31, v6, v25 dst_sel:DWORD dst_unused:UNUSED_PAD src0_sel:WORD_1 src1_sel:DWORD
	v_mul_f16_sdwa v32, v6, v14 dst_sel:DWORD dst_unused:UNUSED_PAD src0_sel:WORD_1 src1_sel:DWORD
	;; [unrolled: 1-line block ×10, first 2 shown]
	v_mul_f16_sdwa v41, v17, v11 dst_sel:DWORD dst_unused:UNUSED_PAD src0_sel:DWORD src1_sel:WORD_1
	v_mul_f16_sdwa v42, v11, v20 dst_sel:DWORD dst_unused:UNUSED_PAD src0_sel:WORD_1 src1_sel:DWORD
	v_mul_f16_sdwa v43, v24, v12 dst_sel:DWORD dst_unused:UNUSED_PAD src0_sel:DWORD src1_sel:WORD_1
	v_mul_f16_sdwa v44, v21, v12 dst_sel:DWORD dst_unused:UNUSED_PAD src0_sel:DWORD src1_sel:WORD_1
	v_fma_f16 v14, v6, v14, v31
	v_fma_f16 v6, v6, v25, -v32
	v_fma_f16 v15, v7, v15, v33
	v_fma_f16 v7, v7, v26, -v34
	;; [unrolled: 2-line block ×7, first 2 shown]
	v_sub_f16_e32 v21, v13, v22
	v_sub_f16_e32 v9, v30, v9
	v_sub_f16_e32 v20, v15, v20
	v_sub_f16_e32 v11, v7, v11
	v_sub_f16_e32 v22, v14, v23
	v_sub_f16_e32 v10, v6, v10
	v_sub_f16_e32 v17, v16, v17
	v_sub_f16_e32 v12, v8, v12
	v_fma_f16 v15, v15, 2.0, -v20
	v_fma_f16 v7, v7, 2.0, -v11
	v_fma_f16 v16, v16, 2.0, -v17
	v_fma_f16 v8, v8, 2.0, -v12
	v_add_f16_e32 v11, v21, v11
	v_sub_f16_e32 v20, v9, v20
	v_add_f16_e32 v12, v22, v12
	v_sub_f16_e32 v17, v10, v17
	v_fma_f16 v13, v13, 2.0, -v21
	v_fma_f16 v23, v30, 2.0, -v9
	v_fma_f16 v14, v14, 2.0, -v22
	v_fma_f16 v6, v6, 2.0, -v10
	v_fma_f16 v21, v21, 2.0, -v11
	v_fma_f16 v9, v9, 2.0, -v20
	v_fma_f16 v22, v22, 2.0, -v12
	v_fma_f16 v10, v10, 2.0, -v17
	v_sub_f16_e32 v15, v13, v15
	v_sub_f16_e32 v7, v23, v7
	;; [unrolled: 1-line block ×4, first 2 shown]
	v_fma_f16 v24, v22, s0, v21
	v_fma_f16 v25, v10, s0, v9
	v_fma_f16 v13, v13, 2.0, -v15
	v_fma_f16 v23, v23, 2.0, -v7
	;; [unrolled: 1-line block ×4, first 2 shown]
	v_fma_f16 v10, v10, s1, v24
	v_fma_f16 v22, v22, s0, v25
	v_add_f16_e32 v8, v15, v8
	v_sub_f16_e32 v16, v7, v16
	v_fma_f16 v24, v12, s1, v11
	v_fma_f16 v25, v17, s1, v20
	v_sub_f16_e32 v14, v13, v14
	v_sub_f16_e32 v6, v23, v6
	v_fma_f16 v15, v15, 2.0, -v8
	v_fma_f16 v7, v7, 2.0, -v16
	v_fma_f16 v17, v17, s1, v24
	v_fma_f16 v12, v12, s0, v25
	v_fma_f16 v13, v13, 2.0, -v14
	v_fma_f16 v23, v23, 2.0, -v6
	;; [unrolled: 1-line block ×6, first 2 shown]
	v_pack_b32_f16 v7, v15, v7
	v_pack_b32_f16 v13, v13, v23
	;; [unrolled: 1-line block ×3, first 2 shown]
	ds_write_b32 v18, v7 offset:2048
	v_pack_b32_f16 v7, v11, v20
	ds_write2st64_b32 v18, v13, v9 offset1:4
	ds_write_b32 v19, v7
	v_pack_b32_f16 v6, v14, v6
	v_pack_b32_f16 v7, v10, v22
	ds_write2st64_b32 v18, v6, v7 offset0:16 offset1:20
	v_pack_b32_f16 v6, v8, v16
	ds_write_b32 v18, v6 offset:6144
	v_pack_b32_f16 v6, v17, v12
	ds_write_b32 v0, v6 offset:7168
	s_waitcnt lgkmcnt(0)
	s_barrier
	s_and_saveexec_b64 s[0:1], vcc
	s_cbranch_execz .LBB0_27
; %bb.26:
	v_mul_lo_u32 v0, s3, v3
	v_mul_lo_u32 v6, s2, v4
	v_mad_u64_u32 v[3:4], s[0:1], s2, v3, 0
	v_lshl_add_u32 v9, v5, 2, 0
	ds_read2st64_b32 v[7:8], v9 offset1:4
	v_add3_u32 v4, v4, v6, v0
	v_lshlrev_b64 v[3:4], 2, v[3:4]
	v_mov_b32_e32 v0, s11
	v_add_co_u32_e32 v3, vcc, s10, v3
	v_addc_co_u32_e32 v4, vcc, v0, v4, vcc
	v_lshlrev_b64 v[0:1], 2, v[1:2]
	v_mov_b32_e32 v6, 0
	v_add_co_u32_e32 v10, vcc, v3, v0
	v_addc_co_u32_e32 v4, vcc, v4, v1, vcc
	v_lshlrev_b64 v[0:1], 2, v[5:6]
	ds_read2st64_b32 v[2:3], v9 offset0:8 offset1:12
	v_add_co_u32_e32 v0, vcc, v10, v0
	v_addc_co_u32_e32 v1, vcc, v4, v1, vcc
	s_waitcnt lgkmcnt(1)
	global_store_dword v[0:1], v7, off
	v_add_u32_e32 v0, 0x100, v5
	v_mov_b32_e32 v1, v6
	v_lshlrev_b64 v[0:1], 2, v[0:1]
	v_add_co_u32_e32 v0, vcc, v10, v0
	v_addc_co_u32_e32 v1, vcc, v4, v1, vcc
	global_store_dword v[0:1], v8, off
	v_add_u32_e32 v0, 0x200, v5
	v_mov_b32_e32 v1, v6
	v_lshlrev_b64 v[0:1], 2, v[0:1]
	v_add_co_u32_e32 v0, vcc, v10, v0
	v_addc_co_u32_e32 v1, vcc, v4, v1, vcc
	s_waitcnt lgkmcnt(0)
	global_store_dword v[0:1], v2, off
	v_add_u32_e32 v0, 0x300, v5
	v_mov_b32_e32 v1, v6
	v_lshlrev_b64 v[0:1], 2, v[0:1]
	v_add_co_u32_e32 v0, vcc, v10, v0
	v_addc_co_u32_e32 v1, vcc, v4, v1, vcc
	global_store_dword v[0:1], v3, off
	v_add_u32_e32 v0, 0x400, v5
	v_mov_b32_e32 v1, v6
	ds_read2st64_b32 v[2:3], v9 offset0:16 offset1:20
	v_lshlrev_b64 v[0:1], 2, v[0:1]
	v_add_co_u32_e32 v0, vcc, v10, v0
	v_addc_co_u32_e32 v1, vcc, v4, v1, vcc
	s_waitcnt lgkmcnt(0)
	global_store_dword v[0:1], v2, off
	v_add_u32_e32 v0, 0x500, v5
	v_mov_b32_e32 v1, v6
	v_lshlrev_b64 v[0:1], 2, v[0:1]
	v_add_co_u32_e32 v0, vcc, v10, v0
	v_addc_co_u32_e32 v1, vcc, v4, v1, vcc
	global_store_dword v[0:1], v3, off
	v_add_u32_e32 v0, 0x600, v5
	v_mov_b32_e32 v1, v6
	ds_read2st64_b32 v[2:3], v9 offset0:24 offset1:28
	v_lshlrev_b64 v[0:1], 2, v[0:1]
	v_add_u32_e32 v5, 0x700, v5
	v_add_co_u32_e32 v0, vcc, v10, v0
	v_addc_co_u32_e32 v1, vcc, v4, v1, vcc
	s_waitcnt lgkmcnt(0)
	global_store_dword v[0:1], v2, off
	v_lshlrev_b64 v[0:1], 2, v[5:6]
	v_add_co_u32_e32 v0, vcc, v10, v0
	v_addc_co_u32_e32 v1, vcc, v4, v1, vcc
	global_store_dword v[0:1], v3, off
.LBB0_27:
	s_endpgm
	.section	.rodata,"a",@progbits
	.p2align	6, 0x0
	.amdhsa_kernel fft_rtc_back_len2048_factors_16_16_8_wgs_256_tpt_256_halfLds_half_op_CI_CI_unitstride_sbrr_C2R_dirReg
		.amdhsa_group_segment_fixed_size 0
		.amdhsa_private_segment_fixed_size 0
		.amdhsa_kernarg_size 104
		.amdhsa_user_sgpr_count 6
		.amdhsa_user_sgpr_private_segment_buffer 1
		.amdhsa_user_sgpr_dispatch_ptr 0
		.amdhsa_user_sgpr_queue_ptr 0
		.amdhsa_user_sgpr_kernarg_segment_ptr 1
		.amdhsa_user_sgpr_dispatch_id 0
		.amdhsa_user_sgpr_flat_scratch_init 0
		.amdhsa_user_sgpr_private_segment_size 0
		.amdhsa_uses_dynamic_stack 0
		.amdhsa_system_sgpr_private_segment_wavefront_offset 0
		.amdhsa_system_sgpr_workgroup_id_x 1
		.amdhsa_system_sgpr_workgroup_id_y 0
		.amdhsa_system_sgpr_workgroup_id_z 0
		.amdhsa_system_sgpr_workgroup_info 0
		.amdhsa_system_vgpr_workitem_id 0
		.amdhsa_next_free_vgpr 58
		.amdhsa_next_free_sgpr 28
		.amdhsa_reserve_vcc 1
		.amdhsa_reserve_flat_scratch 0
		.amdhsa_float_round_mode_32 0
		.amdhsa_float_round_mode_16_64 0
		.amdhsa_float_denorm_mode_32 3
		.amdhsa_float_denorm_mode_16_64 3
		.amdhsa_dx10_clamp 1
		.amdhsa_ieee_mode 1
		.amdhsa_fp16_overflow 0
		.amdhsa_exception_fp_ieee_invalid_op 0
		.amdhsa_exception_fp_denorm_src 0
		.amdhsa_exception_fp_ieee_div_zero 0
		.amdhsa_exception_fp_ieee_overflow 0
		.amdhsa_exception_fp_ieee_underflow 0
		.amdhsa_exception_fp_ieee_inexact 0
		.amdhsa_exception_int_div_zero 0
	.end_amdhsa_kernel
	.text
.Lfunc_end0:
	.size	fft_rtc_back_len2048_factors_16_16_8_wgs_256_tpt_256_halfLds_half_op_CI_CI_unitstride_sbrr_C2R_dirReg, .Lfunc_end0-fft_rtc_back_len2048_factors_16_16_8_wgs_256_tpt_256_halfLds_half_op_CI_CI_unitstride_sbrr_C2R_dirReg
                                        ; -- End function
	.section	.AMDGPU.csdata,"",@progbits
; Kernel info:
; codeLenInByte = 6988
; NumSgprs: 32
; NumVgprs: 58
; ScratchSize: 0
; MemoryBound: 0
; FloatMode: 240
; IeeeMode: 1
; LDSByteSize: 0 bytes/workgroup (compile time only)
; SGPRBlocks: 3
; VGPRBlocks: 14
; NumSGPRsForWavesPerEU: 32
; NumVGPRsForWavesPerEU: 58
; Occupancy: 4
; WaveLimiterHint : 1
; COMPUTE_PGM_RSRC2:SCRATCH_EN: 0
; COMPUTE_PGM_RSRC2:USER_SGPR: 6
; COMPUTE_PGM_RSRC2:TRAP_HANDLER: 0
; COMPUTE_PGM_RSRC2:TGID_X_EN: 1
; COMPUTE_PGM_RSRC2:TGID_Y_EN: 0
; COMPUTE_PGM_RSRC2:TGID_Z_EN: 0
; COMPUTE_PGM_RSRC2:TIDIG_COMP_CNT: 0
	.type	__hip_cuid_481a542c9ec82593,@object ; @__hip_cuid_481a542c9ec82593
	.section	.bss,"aw",@nobits
	.globl	__hip_cuid_481a542c9ec82593
__hip_cuid_481a542c9ec82593:
	.byte	0                               ; 0x0
	.size	__hip_cuid_481a542c9ec82593, 1

	.ident	"AMD clang version 19.0.0git (https://github.com/RadeonOpenCompute/llvm-project roc-6.4.0 25133 c7fe45cf4b819c5991fe208aaa96edf142730f1d)"
	.section	".note.GNU-stack","",@progbits
	.addrsig
	.addrsig_sym __hip_cuid_481a542c9ec82593
	.amdgpu_metadata
---
amdhsa.kernels:
  - .args:
      - .actual_access:  read_only
        .address_space:  global
        .offset:         0
        .size:           8
        .value_kind:     global_buffer
      - .offset:         8
        .size:           8
        .value_kind:     by_value
      - .actual_access:  read_only
        .address_space:  global
        .offset:         16
        .size:           8
        .value_kind:     global_buffer
      - .actual_access:  read_only
        .address_space:  global
        .offset:         24
        .size:           8
        .value_kind:     global_buffer
      - .actual_access:  read_only
        .address_space:  global
        .offset:         32
        .size:           8
        .value_kind:     global_buffer
      - .offset:         40
        .size:           8
        .value_kind:     by_value
      - .actual_access:  read_only
        .address_space:  global
        .offset:         48
        .size:           8
        .value_kind:     global_buffer
      - .actual_access:  read_only
        .address_space:  global
        .offset:         56
        .size:           8
        .value_kind:     global_buffer
      - .offset:         64
        .size:           4
        .value_kind:     by_value
      - .actual_access:  read_only
        .address_space:  global
        .offset:         72
        .size:           8
        .value_kind:     global_buffer
      - .actual_access:  read_only
        .address_space:  global
        .offset:         80
        .size:           8
        .value_kind:     global_buffer
      - .actual_access:  read_only
        .address_space:  global
        .offset:         88
        .size:           8
        .value_kind:     global_buffer
      - .actual_access:  write_only
        .address_space:  global
        .offset:         96
        .size:           8
        .value_kind:     global_buffer
    .group_segment_fixed_size: 0
    .kernarg_segment_align: 8
    .kernarg_segment_size: 104
    .language:       OpenCL C
    .language_version:
      - 2
      - 0
    .max_flat_workgroup_size: 256
    .name:           fft_rtc_back_len2048_factors_16_16_8_wgs_256_tpt_256_halfLds_half_op_CI_CI_unitstride_sbrr_C2R_dirReg
    .private_segment_fixed_size: 0
    .sgpr_count:     32
    .sgpr_spill_count: 0
    .symbol:         fft_rtc_back_len2048_factors_16_16_8_wgs_256_tpt_256_halfLds_half_op_CI_CI_unitstride_sbrr_C2R_dirReg.kd
    .uniform_work_group_size: 1
    .uses_dynamic_stack: false
    .vgpr_count:     58
    .vgpr_spill_count: 0
    .wavefront_size: 64
amdhsa.target:   amdgcn-amd-amdhsa--gfx906
amdhsa.version:
  - 1
  - 2
...

	.end_amdgpu_metadata
